;; amdgpu-corpus repo=ROCm/rocThrust kind=compiled arch=gfx906 opt=O3
	.amdgcn_target "amdgcn-amd-amdhsa--gfx906"
	.amdhsa_code_object_version 6
	.section	.text._ZN6thrust23THRUST_200600_302600_NS11hip_rocprim14__parallel_for6kernelILj256ENS1_11__transform17unary_transform_fINS0_12zip_iteratorINS0_5tupleINS0_6detail15normal_iteratorINS0_10device_ptrIiEEEESC_SC_SC_SC_SC_SC_SC_SC_NS0_17counting_iteratorIiNS0_11use_defaultESE_SE_EEEEEESC_NS4_14no_stencil_tagE10minFunctorNS4_21always_true_predicateEEElLj1EEEvT0_T1_SN_,"axG",@progbits,_ZN6thrust23THRUST_200600_302600_NS11hip_rocprim14__parallel_for6kernelILj256ENS1_11__transform17unary_transform_fINS0_12zip_iteratorINS0_5tupleINS0_6detail15normal_iteratorINS0_10device_ptrIiEEEESC_SC_SC_SC_SC_SC_SC_SC_NS0_17counting_iteratorIiNS0_11use_defaultESE_SE_EEEEEESC_NS4_14no_stencil_tagE10minFunctorNS4_21always_true_predicateEEElLj1EEEvT0_T1_SN_,comdat
	.protected	_ZN6thrust23THRUST_200600_302600_NS11hip_rocprim14__parallel_for6kernelILj256ENS1_11__transform17unary_transform_fINS0_12zip_iteratorINS0_5tupleINS0_6detail15normal_iteratorINS0_10device_ptrIiEEEESC_SC_SC_SC_SC_SC_SC_SC_NS0_17counting_iteratorIiNS0_11use_defaultESE_SE_EEEEEESC_NS4_14no_stencil_tagE10minFunctorNS4_21always_true_predicateEEElLj1EEEvT0_T1_SN_ ; -- Begin function _ZN6thrust23THRUST_200600_302600_NS11hip_rocprim14__parallel_for6kernelILj256ENS1_11__transform17unary_transform_fINS0_12zip_iteratorINS0_5tupleINS0_6detail15normal_iteratorINS0_10device_ptrIiEEEESC_SC_SC_SC_SC_SC_SC_SC_NS0_17counting_iteratorIiNS0_11use_defaultESE_SE_EEEEEESC_NS4_14no_stencil_tagE10minFunctorNS4_21always_true_predicateEEElLj1EEEvT0_T1_SN_
	.globl	_ZN6thrust23THRUST_200600_302600_NS11hip_rocprim14__parallel_for6kernelILj256ENS1_11__transform17unary_transform_fINS0_12zip_iteratorINS0_5tupleINS0_6detail15normal_iteratorINS0_10device_ptrIiEEEESC_SC_SC_SC_SC_SC_SC_SC_NS0_17counting_iteratorIiNS0_11use_defaultESE_SE_EEEEEESC_NS4_14no_stencil_tagE10minFunctorNS4_21always_true_predicateEEElLj1EEEvT0_T1_SN_
	.p2align	8
	.type	_ZN6thrust23THRUST_200600_302600_NS11hip_rocprim14__parallel_for6kernelILj256ENS1_11__transform17unary_transform_fINS0_12zip_iteratorINS0_5tupleINS0_6detail15normal_iteratorINS0_10device_ptrIiEEEESC_SC_SC_SC_SC_SC_SC_SC_NS0_17counting_iteratorIiNS0_11use_defaultESE_SE_EEEEEESC_NS4_14no_stencil_tagE10minFunctorNS4_21always_true_predicateEEElLj1EEEvT0_T1_SN_,@function
_ZN6thrust23THRUST_200600_302600_NS11hip_rocprim14__parallel_for6kernelILj256ENS1_11__transform17unary_transform_fINS0_12zip_iteratorINS0_5tupleINS0_6detail15normal_iteratorINS0_10device_ptrIiEEEESC_SC_SC_SC_SC_SC_SC_SC_NS0_17counting_iteratorIiNS0_11use_defaultESE_SE_EEEEEESC_NS4_14no_stencil_tagE10minFunctorNS4_21always_true_predicateEEElLj1EEEvT0_T1_SN_: ; @_ZN6thrust23THRUST_200600_302600_NS11hip_rocprim14__parallel_for6kernelILj256ENS1_11__transform17unary_transform_fINS0_12zip_iteratorINS0_5tupleINS0_6detail15normal_iteratorINS0_10device_ptrIiEEEESC_SC_SC_SC_SC_SC_SC_SC_NS0_17counting_iteratorIiNS0_11use_defaultESE_SE_EEEEEESC_NS4_14no_stencil_tagE10minFunctorNS4_21always_true_predicateEEElLj1EEEvT0_T1_SN_
; %bb.0:
	s_load_dwordx8 s[24:31], s[4:5], 0x58
	s_load_dwordx16 s[8:23], s[4:5], 0x0
	s_lshl_b32 s0, s6, 8
	v_mov_b32_e32 v1, 0x100
	v_mov_b32_e32 v2, 0
	s_waitcnt lgkmcnt(0)
	s_add_u32 s33, s30, s0
	s_addc_u32 s34, s31, 0
	s_sub_u32 s0, s28, s33
	s_subb_u32 s1, s29, s34
	s_load_dwordx2 s[28:29], s[4:5], 0x40
	s_load_dword s27, s[4:5], 0x48
	s_load_dwordx2 s[6:7], s[4:5], 0x50
	v_cmp_lt_i64_e32 vcc, s[0:1], v[1:2]
	s_and_b64 s[2:3], vcc, exec
	s_cselect_b32 s2, s0, 0x100
	s_cmpk_eq_i32 s2, 0x100
	s_mov_b64 s[0:1], -1
	s_cbranch_scc0 .LBB0_3
; %bb.1:
	s_andn2_b64 vcc, exec, s[0:1]
	s_cbranch_vccz .LBB0_38
.LBB0_2:
	s_endpgm
.LBB0_3:
	v_cmp_gt_u32_e32 vcc, s2, v0
	s_and_saveexec_b64 s[0:1], vcc
	s_cbranch_execz .LBB0_37
; %bb.4:
	v_mov_b32_e32 v1, s34
	v_add_co_u32_e32 v4, vcc, s33, v0
	v_addc_co_u32_e32 v5, vcc, 0, v1, vcc
	v_lshlrev_b64 v[1:2], 2, v[4:5]
	v_mov_b32_e32 v3, s9
	v_add_co_u32_e32 v5, vcc, s8, v1
	v_addc_co_u32_e32 v6, vcc, v3, v2, vcc
	global_load_dword v3, v[5:6], off
	s_abs_i32 s35, s24
	v_cvt_f32_u32_e32 v5, s35
	s_sub_i32 s2, 0, s35
	s_waitcnt lgkmcnt(0)
	v_add_u32_e32 v7, s27, v4
	v_sub_u32_e32 v4, 0, v7
	v_rcp_iflag_f32_e32 v5, v5
	v_max_i32_e32 v4, v7, v4
	v_ashrrev_i32_e32 v9, 31, v7
	s_ashr_i32 s36, s24, 31
	v_mul_f32_e32 v5, 0x4f7ffffe, v5
	v_cvt_u32_f32_e32 v5, v5
	v_xor_b32_e32 v9, s36, v9
	s_mul_i32 s37, s25, s24
	v_mul_lo_u32 v6, s2, v5
	v_mul_hi_u32 v6, v5, v6
	v_add_u32_e32 v6, v5, v6
	v_mul_hi_u32 v5, v4, v6
	v_mul_lo_u32 v8, v5, s35
	v_sub_u32_e32 v4, v4, v8
	v_add_u32_e32 v8, 1, v5
	v_cmp_le_u32_e32 vcc, s35, v4
	v_cndmask_b32_e32 v5, v5, v8, vcc
	v_subrev_u32_e32 v8, s35, v4
	v_cndmask_b32_e32 v4, v4, v8, vcc
	v_add_u32_e32 v8, 1, v5
	v_cmp_le_u32_e32 vcc, s35, v4
	v_cndmask_b32_e32 v4, v5, v8, vcc
	v_xor_b32_e32 v4, v4, v9
	v_sub_u32_e32 v4, v4, v9
	v_mul_lo_u32 v5, v4, s24
	v_sub_u32_e32 v5, v7, v5
	v_cmp_le_i32_e32 vcc, s26, v5
	s_and_saveexec_b64 s[2:3], vcc
	s_cbranch_execz .LBB0_16
; %bb.5:
	v_mov_b32_e32 v8, s15
	v_add_co_u32_e32 v7, vcc, s14, v1
	v_addc_co_u32_e32 v8, vcc, v8, v2, vcc
	global_load_dword v7, v[7:8], off
	s_waitcnt vmcnt(0)
	v_cmp_ne_u32_e32 vcc, s37, v7
	s_and_saveexec_b64 s[4:5], vcc
	s_cbranch_execz .LBB0_7
; %bb.6:
	v_sub_u32_e32 v8, 0, v7
	v_max_i32_e32 v8, v7, v8
	v_mul_hi_u32 v9, v8, v6
	v_ashrrev_i32_e32 v11, 31, v7
	v_xor_b32_e32 v11, s36, v11
	v_mul_lo_u32 v10, v9, s35
	v_add_u32_e32 v12, 1, v9
	v_sub_u32_e32 v8, v8, v10
	v_cmp_le_u32_e32 vcc, s35, v8
	v_cndmask_b32_e32 v9, v9, v12, vcc
	v_sub_u32_e32 v12, 0, v3
	v_max_i32_e32 v12, v3, v12
	v_mul_hi_u32 v13, v12, v6
	v_subrev_u32_e32 v10, s35, v8
	v_cndmask_b32_e32 v8, v8, v10, vcc
	v_add_u32_e32 v10, 1, v9
	v_cmp_le_u32_e32 vcc, s35, v8
	v_cndmask_b32_e32 v8, v9, v10, vcc
	v_mul_lo_u32 v9, v13, s35
	v_xor_b32_e32 v8, v8, v11
	v_sub_u32_e32 v8, v8, v11
	v_ashrrev_i32_e32 v11, 31, v3
	v_sub_u32_e32 v9, v12, v9
	v_add_u32_e32 v12, 1, v13
	v_cmp_le_u32_e32 vcc, s35, v9
	v_cndmask_b32_e32 v12, v13, v12, vcc
	v_subrev_u32_e32 v13, s35, v9
	v_cndmask_b32_e32 v9, v9, v13, vcc
	v_add_u32_e32 v13, 1, v12
	v_cmp_le_u32_e32 vcc, s35, v9
	v_xor_b32_e32 v11, s36, v11
	v_cndmask_b32_e32 v9, v12, v13, vcc
	v_xor_b32_e32 v9, v9, v11
	v_mul_lo_u32 v10, v8, s24
	v_sub_u32_e32 v9, v9, v11
	v_mul_lo_u32 v11, v9, s24
	v_sub_u32_e32 v8, v4, v8
	v_sub_u32_e32 v9, v4, v9
	v_mul_lo_u32 v8, v8, v8
	v_mul_lo_u32 v9, v9, v9
	v_sub_u32_e32 v10, v10, v7
	v_add_u32_e32 v10, v10, v5
	v_sub_u32_e32 v12, v11, v3
	v_mad_u64_u32 v[10:11], s[30:31], v10, v10, v[8:9]
	v_add_u32_e32 v8, v12, v5
	v_mad_u64_u32 v[8:9], s[30:31], v8, v8, v[9:10]
	v_cmp_lt_u32_e32 vcc, v10, v8
	v_cndmask_b32_e32 v3, v3, v7, vcc
.LBB0_7:
	s_or_b64 exec, exec, s[4:5]
	v_cmp_le_i32_e32 vcc, s26, v4
	s_and_saveexec_b64 s[4:5], vcc
	s_cbranch_execz .LBB0_11
; %bb.8:
	v_mov_b32_e32 v8, s29
	v_add_co_u32_e32 v7, vcc, s28, v1
	v_addc_co_u32_e32 v8, vcc, v8, v2, vcc
	global_load_dword v7, v[7:8], off
	s_waitcnt vmcnt(0)
	v_cmp_ne_u32_e32 vcc, s37, v7
	s_and_saveexec_b64 s[30:31], vcc
	s_cbranch_execz .LBB0_10
; %bb.9:
	v_sub_u32_e32 v8, 0, v7
	v_max_i32_e32 v8, v7, v8
	v_mul_hi_u32 v9, v8, v6
	v_ashrrev_i32_e32 v11, 31, v7
	v_xor_b32_e32 v11, s36, v11
	v_mul_lo_u32 v10, v9, s35
	v_add_u32_e32 v12, 1, v9
	v_sub_u32_e32 v8, v8, v10
	v_cmp_le_u32_e32 vcc, s35, v8
	v_cndmask_b32_e32 v9, v9, v12, vcc
	v_sub_u32_e32 v12, 0, v3
	v_max_i32_e32 v12, v3, v12
	v_mul_hi_u32 v13, v12, v6
	v_subrev_u32_e32 v10, s35, v8
	v_cndmask_b32_e32 v8, v8, v10, vcc
	v_add_u32_e32 v10, 1, v9
	v_cmp_le_u32_e32 vcc, s35, v8
	v_cndmask_b32_e32 v8, v9, v10, vcc
	v_mul_lo_u32 v9, v13, s35
	v_xor_b32_e32 v8, v8, v11
	v_sub_u32_e32 v8, v8, v11
	v_ashrrev_i32_e32 v11, 31, v3
	v_sub_u32_e32 v9, v12, v9
	v_add_u32_e32 v12, 1, v13
	v_cmp_le_u32_e32 vcc, s35, v9
	v_cndmask_b32_e32 v12, v13, v12, vcc
	v_subrev_u32_e32 v13, s35, v9
	v_cndmask_b32_e32 v9, v9, v13, vcc
	v_add_u32_e32 v13, 1, v12
	v_cmp_le_u32_e32 vcc, s35, v9
	v_xor_b32_e32 v11, s36, v11
	v_cndmask_b32_e32 v9, v12, v13, vcc
	v_xor_b32_e32 v9, v9, v11
	v_mul_lo_u32 v10, v8, s24
	v_sub_u32_e32 v9, v9, v11
	v_mul_lo_u32 v11, v9, s24
	v_sub_u32_e32 v8, v4, v8
	v_sub_u32_e32 v9, v4, v9
	v_mul_lo_u32 v8, v8, v8
	v_mul_lo_u32 v9, v9, v9
	v_sub_u32_e32 v10, v10, v7
	v_add_u32_e32 v10, v10, v5
	v_sub_u32_e32 v12, v11, v3
	v_mad_u64_u32 v[10:11], s[38:39], v10, v10, v[8:9]
	v_add_u32_e32 v8, v12, v5
	v_mad_u64_u32 v[8:9], s[38:39], v8, v8, v[9:10]
	v_cmp_lt_u32_e32 vcc, v10, v8
	v_cndmask_b32_e32 v3, v3, v7, vcc
.LBB0_10:
	s_or_b64 exec, exec, s[30:31]
.LBB0_11:
	s_or_b64 exec, exec, s[4:5]
	v_add_u32_e32 v7, s26, v4
	v_cmp_gt_i32_e32 vcc, s25, v7
	s_and_saveexec_b64 s[4:5], vcc
	s_cbranch_execz .LBB0_15
; %bb.12:
	v_mov_b32_e32 v8, s23
	v_add_co_u32_e32 v7, vcc, s22, v1
	v_addc_co_u32_e32 v8, vcc, v8, v2, vcc
	global_load_dword v7, v[7:8], off
	s_waitcnt vmcnt(0)
	v_cmp_ne_u32_e32 vcc, s37, v7
	s_and_saveexec_b64 s[30:31], vcc
	s_cbranch_execz .LBB0_14
; %bb.13:
	v_sub_u32_e32 v8, 0, v7
	v_max_i32_e32 v8, v7, v8
	v_mul_hi_u32 v9, v8, v6
	v_ashrrev_i32_e32 v11, 31, v7
	v_xor_b32_e32 v11, s36, v11
	v_mul_lo_u32 v10, v9, s35
	v_add_u32_e32 v12, 1, v9
	v_sub_u32_e32 v8, v8, v10
	v_cmp_le_u32_e32 vcc, s35, v8
	v_cndmask_b32_e32 v9, v9, v12, vcc
	v_sub_u32_e32 v12, 0, v3
	v_max_i32_e32 v12, v3, v12
	v_mul_hi_u32 v13, v12, v6
	v_subrev_u32_e32 v10, s35, v8
	v_cndmask_b32_e32 v8, v8, v10, vcc
	v_add_u32_e32 v10, 1, v9
	v_cmp_le_u32_e32 vcc, s35, v8
	v_cndmask_b32_e32 v8, v9, v10, vcc
	v_mul_lo_u32 v9, v13, s35
	v_xor_b32_e32 v8, v8, v11
	v_sub_u32_e32 v8, v8, v11
	v_ashrrev_i32_e32 v11, 31, v3
	v_sub_u32_e32 v9, v12, v9
	v_add_u32_e32 v12, 1, v13
	v_cmp_le_u32_e32 vcc, s35, v9
	v_cndmask_b32_e32 v12, v13, v12, vcc
	v_subrev_u32_e32 v13, s35, v9
	v_cndmask_b32_e32 v9, v9, v13, vcc
	v_add_u32_e32 v13, 1, v12
	v_cmp_le_u32_e32 vcc, s35, v9
	v_xor_b32_e32 v11, s36, v11
	v_cndmask_b32_e32 v9, v12, v13, vcc
	v_xor_b32_e32 v9, v9, v11
	v_mul_lo_u32 v10, v8, s24
	v_sub_u32_e32 v9, v9, v11
	v_mul_lo_u32 v11, v9, s24
	v_sub_u32_e32 v8, v4, v8
	v_sub_u32_e32 v9, v4, v9
	v_mul_lo_u32 v8, v8, v8
	v_mul_lo_u32 v9, v9, v9
	v_sub_u32_e32 v10, v10, v7
	v_add_u32_e32 v10, v10, v5
	v_sub_u32_e32 v12, v11, v3
	v_mad_u64_u32 v[10:11], s[38:39], v10, v10, v[8:9]
	v_add_u32_e32 v8, v12, v5
	v_mad_u64_u32 v[8:9], s[38:39], v8, v8, v[9:10]
	v_cmp_lt_u32_e32 vcc, v10, v8
	v_cndmask_b32_e32 v3, v3, v7, vcc
.LBB0_14:
	s_or_b64 exec, exec, s[30:31]
.LBB0_15:
	s_or_b64 exec, exec, s[4:5]
.LBB0_16:
	s_or_b64 exec, exec, s[2:3]
	v_add_u32_e32 v7, s26, v5
	v_cmp_gt_i32_e32 vcc, s24, v7
	s_and_saveexec_b64 s[2:3], vcc
	s_cbranch_execz .LBB0_28
; %bb.17:
	v_mov_b32_e32 v8, s11
	v_add_co_u32_e32 v7, vcc, s10, v1
	v_addc_co_u32_e32 v8, vcc, v8, v2, vcc
	global_load_dword v7, v[7:8], off
	s_waitcnt vmcnt(0)
	v_cmp_ne_u32_e32 vcc, s37, v7
	s_and_saveexec_b64 s[4:5], vcc
	s_cbranch_execz .LBB0_19
; %bb.18:
	v_sub_u32_e32 v8, 0, v7
	v_max_i32_e32 v8, v7, v8
	v_mul_hi_u32 v9, v8, v6
	v_ashrrev_i32_e32 v11, 31, v7
	v_xor_b32_e32 v11, s36, v11
	v_mul_lo_u32 v10, v9, s35
	v_add_u32_e32 v12, 1, v9
	v_sub_u32_e32 v8, v8, v10
	v_cmp_le_u32_e32 vcc, s35, v8
	v_cndmask_b32_e32 v9, v9, v12, vcc
	v_sub_u32_e32 v12, 0, v3
	v_max_i32_e32 v12, v3, v12
	v_mul_hi_u32 v13, v12, v6
	v_subrev_u32_e32 v10, s35, v8
	v_cndmask_b32_e32 v8, v8, v10, vcc
	v_add_u32_e32 v10, 1, v9
	v_cmp_le_u32_e32 vcc, s35, v8
	v_cndmask_b32_e32 v8, v9, v10, vcc
	v_mul_lo_u32 v9, v13, s35
	v_xor_b32_e32 v8, v8, v11
	v_sub_u32_e32 v8, v8, v11
	v_ashrrev_i32_e32 v11, 31, v3
	v_sub_u32_e32 v9, v12, v9
	v_add_u32_e32 v12, 1, v13
	v_cmp_le_u32_e32 vcc, s35, v9
	v_cndmask_b32_e32 v12, v13, v12, vcc
	v_subrev_u32_e32 v13, s35, v9
	v_cndmask_b32_e32 v9, v9, v13, vcc
	v_add_u32_e32 v13, 1, v12
	v_cmp_le_u32_e32 vcc, s35, v9
	v_xor_b32_e32 v11, s36, v11
	v_cndmask_b32_e32 v9, v12, v13, vcc
	v_xor_b32_e32 v9, v9, v11
	v_mul_lo_u32 v10, v8, s24
	v_sub_u32_e32 v9, v9, v11
	v_mul_lo_u32 v11, v9, s24
	v_sub_u32_e32 v8, v4, v8
	v_sub_u32_e32 v9, v4, v9
	v_mul_lo_u32 v8, v8, v8
	v_mul_lo_u32 v9, v9, v9
	v_sub_u32_e32 v10, v10, v7
	v_add_u32_e32 v10, v10, v5
	v_sub_u32_e32 v12, v11, v3
	v_mad_u64_u32 v[10:11], s[30:31], v10, v10, v[8:9]
	v_add_u32_e32 v8, v12, v5
	v_mad_u64_u32 v[8:9], s[30:31], v8, v8, v[9:10]
	v_cmp_lt_u32_e32 vcc, v10, v8
	v_cndmask_b32_e32 v3, v3, v7, vcc
.LBB0_19:
	s_or_b64 exec, exec, s[4:5]
	v_cmp_le_i32_e32 vcc, s26, v4
	s_and_saveexec_b64 s[4:5], vcc
	s_cbranch_execz .LBB0_23
; %bb.20:
	v_mov_b32_e32 v8, s21
	v_add_co_u32_e32 v7, vcc, s20, v1
	v_addc_co_u32_e32 v8, vcc, v8, v2, vcc
	global_load_dword v7, v[7:8], off
	s_waitcnt vmcnt(0)
	v_cmp_ne_u32_e32 vcc, s37, v7
	s_and_saveexec_b64 s[30:31], vcc
	s_cbranch_execz .LBB0_22
; %bb.21:
	v_sub_u32_e32 v8, 0, v7
	v_max_i32_e32 v8, v7, v8
	v_mul_hi_u32 v9, v8, v6
	v_ashrrev_i32_e32 v11, 31, v7
	v_xor_b32_e32 v11, s36, v11
	v_mul_lo_u32 v10, v9, s35
	v_add_u32_e32 v12, 1, v9
	v_sub_u32_e32 v8, v8, v10
	v_cmp_le_u32_e32 vcc, s35, v8
	v_cndmask_b32_e32 v9, v9, v12, vcc
	v_sub_u32_e32 v12, 0, v3
	v_max_i32_e32 v12, v3, v12
	v_mul_hi_u32 v13, v12, v6
	v_subrev_u32_e32 v10, s35, v8
	v_cndmask_b32_e32 v8, v8, v10, vcc
	v_add_u32_e32 v10, 1, v9
	v_cmp_le_u32_e32 vcc, s35, v8
	v_cndmask_b32_e32 v8, v9, v10, vcc
	v_mul_lo_u32 v9, v13, s35
	v_xor_b32_e32 v8, v8, v11
	v_sub_u32_e32 v8, v8, v11
	v_ashrrev_i32_e32 v11, 31, v3
	v_sub_u32_e32 v9, v12, v9
	v_add_u32_e32 v12, 1, v13
	v_cmp_le_u32_e32 vcc, s35, v9
	v_cndmask_b32_e32 v12, v13, v12, vcc
	v_subrev_u32_e32 v13, s35, v9
	v_cndmask_b32_e32 v9, v9, v13, vcc
	v_add_u32_e32 v13, 1, v12
	v_cmp_le_u32_e32 vcc, s35, v9
	v_xor_b32_e32 v11, s36, v11
	v_cndmask_b32_e32 v9, v12, v13, vcc
	v_xor_b32_e32 v9, v9, v11
	v_mul_lo_u32 v10, v8, s24
	v_sub_u32_e32 v9, v9, v11
	v_mul_lo_u32 v11, v9, s24
	v_sub_u32_e32 v8, v4, v8
	v_sub_u32_e32 v9, v4, v9
	v_mul_lo_u32 v8, v8, v8
	v_mul_lo_u32 v9, v9, v9
	v_sub_u32_e32 v10, v10, v7
	v_add_u32_e32 v10, v10, v5
	v_sub_u32_e32 v12, v11, v3
	v_mad_u64_u32 v[10:11], s[38:39], v10, v10, v[8:9]
	v_add_u32_e32 v8, v12, v5
	v_mad_u64_u32 v[8:9], s[38:39], v8, v8, v[9:10]
	v_cmp_lt_u32_e32 vcc, v10, v8
	v_cndmask_b32_e32 v3, v3, v7, vcc
.LBB0_22:
	s_or_b64 exec, exec, s[30:31]
.LBB0_23:
	s_or_b64 exec, exec, s[4:5]
	v_add_u32_e32 v7, s26, v4
	v_cmp_gt_i32_e32 vcc, s25, v7
	s_and_saveexec_b64 s[4:5], vcc
	s_cbranch_execz .LBB0_27
; %bb.24:
	v_mov_b32_e32 v8, s19
	v_add_co_u32_e32 v7, vcc, s18, v1
	v_addc_co_u32_e32 v8, vcc, v8, v2, vcc
	global_load_dword v7, v[7:8], off
	s_waitcnt vmcnt(0)
	v_cmp_ne_u32_e32 vcc, s37, v7
	s_and_saveexec_b64 s[30:31], vcc
	s_cbranch_execz .LBB0_26
; %bb.25:
	v_sub_u32_e32 v8, 0, v7
	v_max_i32_e32 v8, v7, v8
	v_mul_hi_u32 v9, v8, v6
	v_ashrrev_i32_e32 v11, 31, v7
	v_xor_b32_e32 v11, s36, v11
	v_mul_lo_u32 v10, v9, s35
	v_add_u32_e32 v12, 1, v9
	v_sub_u32_e32 v8, v8, v10
	v_cmp_le_u32_e32 vcc, s35, v8
	v_cndmask_b32_e32 v9, v9, v12, vcc
	v_sub_u32_e32 v12, 0, v3
	v_max_i32_e32 v12, v3, v12
	v_mul_hi_u32 v13, v12, v6
	v_subrev_u32_e32 v10, s35, v8
	v_cndmask_b32_e32 v8, v8, v10, vcc
	v_add_u32_e32 v10, 1, v9
	v_cmp_le_u32_e32 vcc, s35, v8
	v_cndmask_b32_e32 v8, v9, v10, vcc
	v_mul_lo_u32 v9, v13, s35
	v_xor_b32_e32 v8, v8, v11
	v_sub_u32_e32 v8, v8, v11
	v_ashrrev_i32_e32 v11, 31, v3
	v_sub_u32_e32 v9, v12, v9
	v_add_u32_e32 v12, 1, v13
	v_cmp_le_u32_e32 vcc, s35, v9
	v_cndmask_b32_e32 v12, v13, v12, vcc
	v_subrev_u32_e32 v13, s35, v9
	v_cndmask_b32_e32 v9, v9, v13, vcc
	v_add_u32_e32 v13, 1, v12
	v_cmp_le_u32_e32 vcc, s35, v9
	v_xor_b32_e32 v11, s36, v11
	v_cndmask_b32_e32 v9, v12, v13, vcc
	v_xor_b32_e32 v9, v9, v11
	v_mul_lo_u32 v10, v8, s24
	v_sub_u32_e32 v9, v9, v11
	v_mul_lo_u32 v11, v9, s24
	v_sub_u32_e32 v8, v4, v8
	v_sub_u32_e32 v9, v4, v9
	v_mul_lo_u32 v8, v8, v8
	v_mul_lo_u32 v9, v9, v9
	v_sub_u32_e32 v10, v10, v7
	v_add_u32_e32 v10, v10, v5
	v_sub_u32_e32 v12, v11, v3
	v_mad_u64_u32 v[10:11], s[38:39], v10, v10, v[8:9]
	v_add_u32_e32 v8, v12, v5
	v_mad_u64_u32 v[8:9], s[38:39], v8, v8, v[9:10]
	v_cmp_lt_u32_e32 vcc, v10, v8
	v_cndmask_b32_e32 v3, v3, v7, vcc
.LBB0_26:
	s_or_b64 exec, exec, s[30:31]
.LBB0_27:
	s_or_b64 exec, exec, s[4:5]
.LBB0_28:
	s_or_b64 exec, exec, s[2:3]
	v_cmp_le_i32_e32 vcc, s26, v4
	s_and_saveexec_b64 s[2:3], vcc
	s_cbranch_execz .LBB0_32
; %bb.29:
	v_mov_b32_e32 v8, s17
	v_add_co_u32_e32 v7, vcc, s16, v1
	v_addc_co_u32_e32 v8, vcc, v8, v2, vcc
	global_load_dword v7, v[7:8], off
	s_waitcnt vmcnt(0)
	v_cmp_ne_u32_e32 vcc, s37, v7
	s_and_saveexec_b64 s[4:5], vcc
	s_cbranch_execz .LBB0_31
; %bb.30:
	v_sub_u32_e32 v8, 0, v7
	v_max_i32_e32 v8, v7, v8
	v_mul_hi_u32 v9, v8, v6
	v_ashrrev_i32_e32 v11, 31, v7
	v_xor_b32_e32 v11, s36, v11
	v_mul_lo_u32 v10, v9, s35
	v_add_u32_e32 v12, 1, v9
	v_sub_u32_e32 v8, v8, v10
	v_cmp_le_u32_e32 vcc, s35, v8
	v_cndmask_b32_e32 v9, v9, v12, vcc
	v_sub_u32_e32 v12, 0, v3
	v_max_i32_e32 v12, v3, v12
	v_mul_hi_u32 v13, v12, v6
	v_subrev_u32_e32 v10, s35, v8
	v_cndmask_b32_e32 v8, v8, v10, vcc
	v_add_u32_e32 v10, 1, v9
	v_cmp_le_u32_e32 vcc, s35, v8
	v_cndmask_b32_e32 v8, v9, v10, vcc
	v_mul_lo_u32 v9, v13, s35
	v_xor_b32_e32 v8, v8, v11
	v_sub_u32_e32 v8, v8, v11
	v_ashrrev_i32_e32 v11, 31, v3
	v_sub_u32_e32 v9, v12, v9
	v_add_u32_e32 v12, 1, v13
	v_cmp_le_u32_e32 vcc, s35, v9
	v_cndmask_b32_e32 v12, v13, v12, vcc
	v_subrev_u32_e32 v13, s35, v9
	v_cndmask_b32_e32 v9, v9, v13, vcc
	v_add_u32_e32 v13, 1, v12
	v_cmp_le_u32_e32 vcc, s35, v9
	v_xor_b32_e32 v11, s36, v11
	v_cndmask_b32_e32 v9, v12, v13, vcc
	v_xor_b32_e32 v9, v9, v11
	v_mul_lo_u32 v10, v8, s24
	v_sub_u32_e32 v9, v9, v11
	v_mul_lo_u32 v11, v9, s24
	v_sub_u32_e32 v8, v4, v8
	v_sub_u32_e32 v9, v4, v9
	v_mul_lo_u32 v8, v8, v8
	v_mul_lo_u32 v9, v9, v9
	v_sub_u32_e32 v10, v10, v7
	v_add_u32_e32 v10, v10, v5
	v_sub_u32_e32 v12, v11, v3
	v_mad_u64_u32 v[10:11], s[30:31], v10, v10, v[8:9]
	v_add_u32_e32 v8, v12, v5
	v_mad_u64_u32 v[8:9], s[30:31], v8, v8, v[9:10]
	v_cmp_lt_u32_e32 vcc, v10, v8
	v_cndmask_b32_e32 v3, v3, v7, vcc
.LBB0_31:
	s_or_b64 exec, exec, s[4:5]
.LBB0_32:
	s_or_b64 exec, exec, s[2:3]
	v_add_u32_e32 v7, s26, v4
	v_cmp_gt_i32_e32 vcc, s25, v7
	s_and_saveexec_b64 s[2:3], vcc
	s_cbranch_execz .LBB0_36
; %bb.33:
	v_mov_b32_e32 v8, s13
	v_add_co_u32_e32 v7, vcc, s12, v1
	v_addc_co_u32_e32 v8, vcc, v8, v2, vcc
	global_load_dword v7, v[7:8], off
	s_waitcnt vmcnt(0)
	v_cmp_ne_u32_e32 vcc, s37, v7
	s_and_saveexec_b64 s[4:5], vcc
	s_cbranch_execz .LBB0_35
; %bb.34:
	v_sub_u32_e32 v8, 0, v7
	v_max_i32_e32 v8, v7, v8
	v_mul_hi_u32 v9, v8, v6
	v_ashrrev_i32_e32 v11, 31, v7
	v_xor_b32_e32 v11, s36, v11
	v_mul_lo_u32 v10, v9, s35
	v_add_u32_e32 v12, 1, v9
	v_sub_u32_e32 v8, v8, v10
	v_cmp_le_u32_e32 vcc, s35, v8
	v_cndmask_b32_e32 v9, v9, v12, vcc
	v_sub_u32_e32 v12, 0, v3
	v_max_i32_e32 v12, v3, v12
	v_mul_hi_u32 v6, v12, v6
	v_subrev_u32_e32 v10, s35, v8
	v_cndmask_b32_e32 v8, v8, v10, vcc
	v_add_u32_e32 v10, 1, v9
	v_cmp_le_u32_e32 vcc, s35, v8
	v_cndmask_b32_e32 v8, v9, v10, vcc
	v_mul_lo_u32 v9, v6, s35
	v_xor_b32_e32 v8, v8, v11
	v_sub_u32_e32 v8, v8, v11
	v_ashrrev_i32_e32 v11, 31, v3
	v_sub_u32_e32 v9, v12, v9
	v_add_u32_e32 v12, 1, v6
	v_cmp_le_u32_e32 vcc, s35, v9
	v_cndmask_b32_e32 v6, v6, v12, vcc
	v_subrev_u32_e32 v12, s35, v9
	v_cndmask_b32_e32 v9, v9, v12, vcc
	v_add_u32_e32 v12, 1, v6
	v_cmp_le_u32_e32 vcc, s35, v9
	v_xor_b32_e32 v11, s36, v11
	v_cndmask_b32_e32 v6, v6, v12, vcc
	v_xor_b32_e32 v6, v6, v11
	v_sub_u32_e32 v9, v6, v11
	v_mul_lo_u32 v6, v9, s24
	v_mul_lo_u32 v10, v8, s24
	v_sub_u32_e32 v11, v6, v3
	v_sub_u32_e32 v6, v4, v8
	v_sub_u32_e32 v4, v4, v9
	v_mul_lo_u32 v6, v6, v6
	v_mul_lo_u32 v4, v4, v4
	v_sub_u32_e32 v10, v10, v7
	v_add_u32_e32 v10, v10, v5
	v_add_u32_e32 v5, v11, v5
	v_mad_u64_u32 v[8:9], s[30:31], v10, v10, v[6:7]
	v_mad_u64_u32 v[4:5], s[30:31], v5, v5, v[4:5]
	v_cmp_lt_u32_e32 vcc, v8, v4
	v_cndmask_b32_e32 v3, v3, v7, vcc
.LBB0_35:
	s_or_b64 exec, exec, s[4:5]
.LBB0_36:
	s_or_b64 exec, exec, s[2:3]
	v_mov_b32_e32 v4, s7
	v_add_co_u32_e32 v1, vcc, s6, v1
	v_addc_co_u32_e32 v2, vcc, v4, v2, vcc
	s_waitcnt vmcnt(0)
	flat_store_dword v[1:2], v3
.LBB0_37:
	s_or_b64 exec, exec, s[0:1]
	s_cbranch_execnz .LBB0_2
.LBB0_38:
	v_mov_b32_e32 v1, s34
	v_add_co_u32_e32 v3, vcc, s33, v0
	v_addc_co_u32_e32 v4, vcc, 0, v1, vcc
	v_lshlrev_b64 v[0:1], 2, v[3:4]
	v_mov_b32_e32 v2, s9
	v_add_co_u32_e32 v4, vcc, s8, v0
	v_addc_co_u32_e32 v5, vcc, v2, v1, vcc
	global_load_dword v2, v[4:5], off
	s_abs_i32 s30, s24
	v_cvt_f32_u32_e32 v4, s30
	s_sub_i32 s0, 0, s30
	s_waitcnt lgkmcnt(0)
	v_add_u32_e32 v3, s27, v3
	v_sub_u32_e32 v6, 0, v3
	v_rcp_iflag_f32_e32 v4, v4
	v_max_i32_e32 v6, v3, v6
	v_ashrrev_i32_e32 v8, 31, v3
	s_ashr_i32 s27, s24, 31
	v_mul_f32_e32 v4, 0x4f7ffffe, v4
	v_cvt_u32_f32_e32 v4, v4
	v_xor_b32_e32 v8, s27, v8
	s_mul_i32 s31, s25, s24
	v_mul_lo_u32 v5, s0, v4
	v_mul_hi_u32 v5, v4, v5
	v_add_u32_e32 v5, v4, v5
	v_mul_hi_u32 v4, v6, v5
	v_mul_lo_u32 v7, v4, s30
	v_sub_u32_e32 v6, v6, v7
	v_add_u32_e32 v7, 1, v4
	v_cmp_le_u32_e32 vcc, s30, v6
	v_cndmask_b32_e32 v4, v4, v7, vcc
	v_subrev_u32_e32 v7, s30, v6
	v_cndmask_b32_e32 v6, v6, v7, vcc
	v_add_u32_e32 v7, 1, v4
	v_cmp_le_u32_e32 vcc, s30, v6
	v_cndmask_b32_e32 v4, v4, v7, vcc
	v_xor_b32_e32 v4, v4, v8
	v_sub_u32_e32 v4, v4, v8
	v_mul_lo_u32 v6, v4, s24
	v_cmp_le_i32_e64 s[0:1], s26, v4
	v_sub_u32_e32 v3, v3, v6
	v_add_u32_e32 v6, s26, v4
	v_cmp_le_i32_e64 s[2:3], s26, v3
	v_cmp_gt_i32_e32 vcc, s25, v6
	s_and_saveexec_b64 s[4:5], s[2:3]
	s_cbranch_execz .LBB0_50
; %bb.39:
	v_mov_b32_e32 v7, s15
	v_add_co_u32_e64 v6, s[2:3], s14, v0
	v_addc_co_u32_e64 v7, s[2:3], v7, v1, s[2:3]
	global_load_dword v6, v[6:7], off
	s_waitcnt vmcnt(0)
	v_cmp_ne_u32_e64 s[2:3], s31, v6
	s_and_saveexec_b64 s[8:9], s[2:3]
	s_cbranch_execnz .LBB0_42
; %bb.40:
	s_or_b64 exec, exec, s[8:9]
	s_and_saveexec_b64 s[8:9], s[0:1]
	s_cbranch_execnz .LBB0_43
.LBB0_41:
	s_or_b64 exec, exec, s[8:9]
	s_and_saveexec_b64 s[8:9], vcc
	s_cbranch_execnz .LBB0_46
	s_branch .LBB0_49
.LBB0_42:
	v_sub_u32_e32 v7, 0, v6
	v_max_i32_e32 v7, v6, v7
	v_mul_hi_u32 v8, v7, v5
	v_ashrrev_i32_e32 v10, 31, v6
	v_xor_b32_e32 v10, s27, v10
	v_mul_lo_u32 v9, v8, s30
	v_add_u32_e32 v11, 1, v8
	v_sub_u32_e32 v7, v7, v9
	v_cmp_le_u32_e64 s[2:3], s30, v7
	v_cndmask_b32_e64 v8, v8, v11, s[2:3]
	v_sub_u32_e32 v11, 0, v2
	v_max_i32_e32 v11, v2, v11
	v_mul_hi_u32 v12, v11, v5
	v_subrev_u32_e32 v9, s30, v7
	v_cndmask_b32_e64 v7, v7, v9, s[2:3]
	v_add_u32_e32 v9, 1, v8
	v_cmp_le_u32_e64 s[2:3], s30, v7
	v_cndmask_b32_e64 v7, v8, v9, s[2:3]
	v_mul_lo_u32 v8, v12, s30
	v_xor_b32_e32 v7, v7, v10
	v_sub_u32_e32 v7, v7, v10
	v_ashrrev_i32_e32 v10, 31, v2
	v_sub_u32_e32 v8, v11, v8
	v_add_u32_e32 v11, 1, v12
	v_cmp_le_u32_e64 s[2:3], s30, v8
	v_cndmask_b32_e64 v11, v12, v11, s[2:3]
	v_subrev_u32_e32 v12, s30, v8
	v_cndmask_b32_e64 v8, v8, v12, s[2:3]
	v_add_u32_e32 v12, 1, v11
	v_cmp_le_u32_e64 s[2:3], s30, v8
	v_xor_b32_e32 v10, s27, v10
	v_cndmask_b32_e64 v8, v11, v12, s[2:3]
	v_xor_b32_e32 v8, v8, v10
	v_mul_lo_u32 v9, v7, s24
	v_sub_u32_e32 v8, v8, v10
	v_mul_lo_u32 v10, v8, s24
	v_sub_u32_e32 v7, v4, v7
	v_sub_u32_e32 v8, v4, v8
	v_mul_lo_u32 v7, v7, v7
	v_mul_lo_u32 v8, v8, v8
	v_sub_u32_e32 v9, v9, v6
	v_add_u32_e32 v9, v9, v3
	v_sub_u32_e32 v11, v10, v2
	v_mad_u64_u32 v[9:10], s[2:3], v9, v9, v[7:8]
	v_add_u32_e32 v7, v11, v3
	v_mad_u64_u32 v[7:8], s[2:3], v7, v7, v[8:9]
	v_cmp_lt_u32_e64 s[2:3], v9, v7
	v_cndmask_b32_e64 v2, v2, v6, s[2:3]
	s_or_b64 exec, exec, s[8:9]
	s_and_saveexec_b64 s[8:9], s[0:1]
	s_cbranch_execz .LBB0_41
.LBB0_43:
	v_mov_b32_e32 v7, s29
	v_add_co_u32_e64 v6, s[2:3], s28, v0
	v_addc_co_u32_e64 v7, s[2:3], v7, v1, s[2:3]
	global_load_dword v6, v[6:7], off
	s_waitcnt vmcnt(0)
	v_cmp_ne_u32_e64 s[2:3], s31, v6
	s_and_saveexec_b64 s[14:15], s[2:3]
	s_cbranch_execz .LBB0_45
; %bb.44:
	v_sub_u32_e32 v7, 0, v6
	v_max_i32_e32 v7, v6, v7
	v_mul_hi_u32 v8, v7, v5
	v_ashrrev_i32_e32 v10, 31, v6
	v_xor_b32_e32 v10, s27, v10
	v_mul_lo_u32 v9, v8, s30
	v_add_u32_e32 v11, 1, v8
	v_sub_u32_e32 v7, v7, v9
	v_cmp_le_u32_e64 s[2:3], s30, v7
	v_cndmask_b32_e64 v8, v8, v11, s[2:3]
	v_sub_u32_e32 v11, 0, v2
	v_max_i32_e32 v11, v2, v11
	v_mul_hi_u32 v12, v11, v5
	v_subrev_u32_e32 v9, s30, v7
	v_cndmask_b32_e64 v7, v7, v9, s[2:3]
	v_add_u32_e32 v9, 1, v8
	v_cmp_le_u32_e64 s[2:3], s30, v7
	v_cndmask_b32_e64 v7, v8, v9, s[2:3]
	v_mul_lo_u32 v8, v12, s30
	v_xor_b32_e32 v7, v7, v10
	v_sub_u32_e32 v7, v7, v10
	v_ashrrev_i32_e32 v10, 31, v2
	v_sub_u32_e32 v8, v11, v8
	v_add_u32_e32 v11, 1, v12
	v_cmp_le_u32_e64 s[2:3], s30, v8
	v_cndmask_b32_e64 v11, v12, v11, s[2:3]
	v_subrev_u32_e32 v12, s30, v8
	v_cndmask_b32_e64 v8, v8, v12, s[2:3]
	v_add_u32_e32 v12, 1, v11
	v_cmp_le_u32_e64 s[2:3], s30, v8
	v_xor_b32_e32 v10, s27, v10
	v_cndmask_b32_e64 v8, v11, v12, s[2:3]
	v_xor_b32_e32 v8, v8, v10
	v_mul_lo_u32 v9, v7, s24
	v_sub_u32_e32 v8, v8, v10
	v_mul_lo_u32 v10, v8, s24
	v_sub_u32_e32 v7, v4, v7
	v_sub_u32_e32 v8, v4, v8
	v_mul_lo_u32 v7, v7, v7
	v_mul_lo_u32 v8, v8, v8
	v_sub_u32_e32 v9, v9, v6
	v_add_u32_e32 v9, v9, v3
	v_sub_u32_e32 v11, v10, v2
	v_mad_u64_u32 v[9:10], s[2:3], v9, v9, v[7:8]
	v_add_u32_e32 v7, v11, v3
	v_mad_u64_u32 v[7:8], s[2:3], v7, v7, v[8:9]
	v_cmp_lt_u32_e64 s[2:3], v9, v7
	v_cndmask_b32_e64 v2, v2, v6, s[2:3]
.LBB0_45:
	s_or_b64 exec, exec, s[14:15]
	s_or_b64 exec, exec, s[8:9]
	s_and_saveexec_b64 s[8:9], vcc
	s_cbranch_execz .LBB0_49
.LBB0_46:
	v_mov_b32_e32 v7, s23
	v_add_co_u32_e64 v6, s[2:3], s22, v0
	v_addc_co_u32_e64 v7, s[2:3], v7, v1, s[2:3]
	global_load_dword v6, v[6:7], off
	s_waitcnt vmcnt(0)
	v_cmp_ne_u32_e64 s[2:3], s31, v6
	s_and_saveexec_b64 s[14:15], s[2:3]
	s_cbranch_execz .LBB0_48
; %bb.47:
	v_sub_u32_e32 v7, 0, v6
	v_max_i32_e32 v7, v6, v7
	v_mul_hi_u32 v8, v7, v5
	v_ashrrev_i32_e32 v10, 31, v6
	v_xor_b32_e32 v10, s27, v10
	v_mul_lo_u32 v9, v8, s30
	v_add_u32_e32 v11, 1, v8
	v_sub_u32_e32 v7, v7, v9
	v_cmp_le_u32_e64 s[2:3], s30, v7
	v_cndmask_b32_e64 v8, v8, v11, s[2:3]
	v_sub_u32_e32 v11, 0, v2
	v_max_i32_e32 v11, v2, v11
	v_mul_hi_u32 v12, v11, v5
	v_subrev_u32_e32 v9, s30, v7
	v_cndmask_b32_e64 v7, v7, v9, s[2:3]
	v_add_u32_e32 v9, 1, v8
	v_cmp_le_u32_e64 s[2:3], s30, v7
	v_cndmask_b32_e64 v7, v8, v9, s[2:3]
	v_mul_lo_u32 v8, v12, s30
	v_xor_b32_e32 v7, v7, v10
	v_sub_u32_e32 v7, v7, v10
	v_ashrrev_i32_e32 v10, 31, v2
	v_sub_u32_e32 v8, v11, v8
	v_add_u32_e32 v11, 1, v12
	v_cmp_le_u32_e64 s[2:3], s30, v8
	v_cndmask_b32_e64 v11, v12, v11, s[2:3]
	v_subrev_u32_e32 v12, s30, v8
	v_cndmask_b32_e64 v8, v8, v12, s[2:3]
	v_add_u32_e32 v12, 1, v11
	v_cmp_le_u32_e64 s[2:3], s30, v8
	v_xor_b32_e32 v10, s27, v10
	v_cndmask_b32_e64 v8, v11, v12, s[2:3]
	v_xor_b32_e32 v8, v8, v10
	v_mul_lo_u32 v9, v7, s24
	v_sub_u32_e32 v8, v8, v10
	v_mul_lo_u32 v10, v8, s24
	v_sub_u32_e32 v7, v4, v7
	v_sub_u32_e32 v8, v4, v8
	v_mul_lo_u32 v7, v7, v7
	v_mul_lo_u32 v8, v8, v8
	v_sub_u32_e32 v9, v9, v6
	v_add_u32_e32 v9, v9, v3
	v_sub_u32_e32 v11, v10, v2
	v_mad_u64_u32 v[9:10], s[2:3], v9, v9, v[7:8]
	v_add_u32_e32 v7, v11, v3
	v_mad_u64_u32 v[7:8], s[2:3], v7, v7, v[8:9]
	v_cmp_lt_u32_e64 s[2:3], v9, v7
	v_cndmask_b32_e64 v2, v2, v6, s[2:3]
.LBB0_48:
	s_or_b64 exec, exec, s[14:15]
.LBB0_49:
	s_or_b64 exec, exec, s[8:9]
.LBB0_50:
	s_or_b64 exec, exec, s[4:5]
	v_add_u32_e32 v6, s26, v3
	v_cmp_gt_i32_e64 s[2:3], s24, v6
	s_and_saveexec_b64 s[4:5], s[2:3]
	s_cbranch_execnz .LBB0_53
; %bb.51:
	s_or_b64 exec, exec, s[4:5]
	s_and_saveexec_b64 s[2:3], s[0:1]
	s_cbranch_execnz .LBB0_64
.LBB0_52:
	s_or_b64 exec, exec, s[2:3]
	s_and_saveexec_b64 s[0:1], vcc
	s_cbranch_execnz .LBB0_67
	s_branch .LBB0_70
.LBB0_53:
	v_mov_b32_e32 v7, s11
	v_add_co_u32_e64 v6, s[2:3], s10, v0
	v_addc_co_u32_e64 v7, s[2:3], v7, v1, s[2:3]
	global_load_dword v6, v[6:7], off
	s_waitcnt vmcnt(0)
	v_cmp_ne_u32_e64 s[2:3], s31, v6
	s_and_saveexec_b64 s[8:9], s[2:3]
	s_cbranch_execnz .LBB0_56
; %bb.54:
	s_or_b64 exec, exec, s[8:9]
	s_and_saveexec_b64 s[8:9], s[0:1]
	s_cbranch_execnz .LBB0_57
.LBB0_55:
	s_or_b64 exec, exec, s[8:9]
	s_and_saveexec_b64 s[8:9], vcc
	s_cbranch_execnz .LBB0_60
	s_branch .LBB0_63
.LBB0_56:
	v_sub_u32_e32 v7, 0, v6
	v_max_i32_e32 v7, v6, v7
	v_mul_hi_u32 v8, v7, v5
	v_ashrrev_i32_e32 v10, 31, v6
	v_xor_b32_e32 v10, s27, v10
	v_mul_lo_u32 v9, v8, s30
	v_add_u32_e32 v11, 1, v8
	v_sub_u32_e32 v7, v7, v9
	v_cmp_le_u32_e64 s[2:3], s30, v7
	v_cndmask_b32_e64 v8, v8, v11, s[2:3]
	v_sub_u32_e32 v11, 0, v2
	v_max_i32_e32 v11, v2, v11
	v_mul_hi_u32 v12, v11, v5
	v_subrev_u32_e32 v9, s30, v7
	v_cndmask_b32_e64 v7, v7, v9, s[2:3]
	v_add_u32_e32 v9, 1, v8
	v_cmp_le_u32_e64 s[2:3], s30, v7
	v_cndmask_b32_e64 v7, v8, v9, s[2:3]
	v_mul_lo_u32 v8, v12, s30
	v_xor_b32_e32 v7, v7, v10
	v_sub_u32_e32 v7, v7, v10
	v_ashrrev_i32_e32 v10, 31, v2
	v_sub_u32_e32 v8, v11, v8
	v_add_u32_e32 v11, 1, v12
	v_cmp_le_u32_e64 s[2:3], s30, v8
	v_cndmask_b32_e64 v11, v12, v11, s[2:3]
	v_subrev_u32_e32 v12, s30, v8
	v_cndmask_b32_e64 v8, v8, v12, s[2:3]
	v_add_u32_e32 v12, 1, v11
	v_cmp_le_u32_e64 s[2:3], s30, v8
	v_xor_b32_e32 v10, s27, v10
	v_cndmask_b32_e64 v8, v11, v12, s[2:3]
	v_xor_b32_e32 v8, v8, v10
	v_mul_lo_u32 v9, v7, s24
	v_sub_u32_e32 v8, v8, v10
	v_mul_lo_u32 v10, v8, s24
	v_sub_u32_e32 v7, v4, v7
	v_sub_u32_e32 v8, v4, v8
	v_mul_lo_u32 v7, v7, v7
	v_mul_lo_u32 v8, v8, v8
	v_sub_u32_e32 v9, v9, v6
	v_add_u32_e32 v9, v9, v3
	v_sub_u32_e32 v11, v10, v2
	v_mad_u64_u32 v[9:10], s[2:3], v9, v9, v[7:8]
	v_add_u32_e32 v7, v11, v3
	v_mad_u64_u32 v[7:8], s[2:3], v7, v7, v[8:9]
	v_cmp_lt_u32_e64 s[2:3], v9, v7
	v_cndmask_b32_e64 v2, v2, v6, s[2:3]
	s_or_b64 exec, exec, s[8:9]
	s_and_saveexec_b64 s[8:9], s[0:1]
	s_cbranch_execz .LBB0_55
.LBB0_57:
	v_mov_b32_e32 v7, s21
	v_add_co_u32_e64 v6, s[2:3], s20, v0
	v_addc_co_u32_e64 v7, s[2:3], v7, v1, s[2:3]
	global_load_dword v6, v[6:7], off
	s_waitcnt vmcnt(0)
	v_cmp_ne_u32_e64 s[2:3], s31, v6
	s_and_saveexec_b64 s[10:11], s[2:3]
	s_cbranch_execz .LBB0_59
; %bb.58:
	v_sub_u32_e32 v7, 0, v6
	v_max_i32_e32 v7, v6, v7
	v_mul_hi_u32 v8, v7, v5
	v_ashrrev_i32_e32 v10, 31, v6
	v_xor_b32_e32 v10, s27, v10
	v_mul_lo_u32 v9, v8, s30
	v_add_u32_e32 v11, 1, v8
	v_sub_u32_e32 v7, v7, v9
	v_cmp_le_u32_e64 s[2:3], s30, v7
	v_cndmask_b32_e64 v8, v8, v11, s[2:3]
	v_sub_u32_e32 v11, 0, v2
	v_max_i32_e32 v11, v2, v11
	v_mul_hi_u32 v12, v11, v5
	v_subrev_u32_e32 v9, s30, v7
	v_cndmask_b32_e64 v7, v7, v9, s[2:3]
	v_add_u32_e32 v9, 1, v8
	v_cmp_le_u32_e64 s[2:3], s30, v7
	v_cndmask_b32_e64 v7, v8, v9, s[2:3]
	v_mul_lo_u32 v8, v12, s30
	v_xor_b32_e32 v7, v7, v10
	v_sub_u32_e32 v7, v7, v10
	v_ashrrev_i32_e32 v10, 31, v2
	v_sub_u32_e32 v8, v11, v8
	v_add_u32_e32 v11, 1, v12
	v_cmp_le_u32_e64 s[2:3], s30, v8
	v_cndmask_b32_e64 v11, v12, v11, s[2:3]
	v_subrev_u32_e32 v12, s30, v8
	v_cndmask_b32_e64 v8, v8, v12, s[2:3]
	v_add_u32_e32 v12, 1, v11
	v_cmp_le_u32_e64 s[2:3], s30, v8
	v_xor_b32_e32 v10, s27, v10
	v_cndmask_b32_e64 v8, v11, v12, s[2:3]
	v_xor_b32_e32 v8, v8, v10
	v_mul_lo_u32 v9, v7, s24
	v_sub_u32_e32 v8, v8, v10
	v_mul_lo_u32 v10, v8, s24
	v_sub_u32_e32 v7, v4, v7
	v_sub_u32_e32 v8, v4, v8
	v_mul_lo_u32 v7, v7, v7
	v_mul_lo_u32 v8, v8, v8
	v_sub_u32_e32 v9, v9, v6
	v_add_u32_e32 v9, v9, v3
	v_sub_u32_e32 v11, v10, v2
	v_mad_u64_u32 v[9:10], s[2:3], v9, v9, v[7:8]
	v_add_u32_e32 v7, v11, v3
	v_mad_u64_u32 v[7:8], s[2:3], v7, v7, v[8:9]
	v_cmp_lt_u32_e64 s[2:3], v9, v7
	v_cndmask_b32_e64 v2, v2, v6, s[2:3]
.LBB0_59:
	s_or_b64 exec, exec, s[10:11]
	s_or_b64 exec, exec, s[8:9]
	s_and_saveexec_b64 s[8:9], vcc
	s_cbranch_execz .LBB0_63
.LBB0_60:
	v_mov_b32_e32 v7, s19
	v_add_co_u32_e64 v6, s[2:3], s18, v0
	v_addc_co_u32_e64 v7, s[2:3], v7, v1, s[2:3]
	global_load_dword v6, v[6:7], off
	s_waitcnt vmcnt(0)
	v_cmp_ne_u32_e64 s[2:3], s31, v6
	s_and_saveexec_b64 s[10:11], s[2:3]
	s_cbranch_execz .LBB0_62
; %bb.61:
	v_sub_u32_e32 v7, 0, v6
	v_max_i32_e32 v7, v6, v7
	v_mul_hi_u32 v8, v7, v5
	v_ashrrev_i32_e32 v10, 31, v6
	v_xor_b32_e32 v10, s27, v10
	v_mul_lo_u32 v9, v8, s30
	v_add_u32_e32 v11, 1, v8
	v_sub_u32_e32 v7, v7, v9
	v_cmp_le_u32_e64 s[2:3], s30, v7
	v_cndmask_b32_e64 v8, v8, v11, s[2:3]
	v_sub_u32_e32 v11, 0, v2
	v_max_i32_e32 v11, v2, v11
	v_mul_hi_u32 v12, v11, v5
	v_subrev_u32_e32 v9, s30, v7
	v_cndmask_b32_e64 v7, v7, v9, s[2:3]
	v_add_u32_e32 v9, 1, v8
	v_cmp_le_u32_e64 s[2:3], s30, v7
	v_cndmask_b32_e64 v7, v8, v9, s[2:3]
	v_mul_lo_u32 v8, v12, s30
	v_xor_b32_e32 v7, v7, v10
	v_sub_u32_e32 v7, v7, v10
	v_ashrrev_i32_e32 v10, 31, v2
	v_sub_u32_e32 v8, v11, v8
	v_add_u32_e32 v11, 1, v12
	v_cmp_le_u32_e64 s[2:3], s30, v8
	v_cndmask_b32_e64 v11, v12, v11, s[2:3]
	v_subrev_u32_e32 v12, s30, v8
	v_cndmask_b32_e64 v8, v8, v12, s[2:3]
	v_add_u32_e32 v12, 1, v11
	v_cmp_le_u32_e64 s[2:3], s30, v8
	v_xor_b32_e32 v10, s27, v10
	v_cndmask_b32_e64 v8, v11, v12, s[2:3]
	v_xor_b32_e32 v8, v8, v10
	v_mul_lo_u32 v9, v7, s24
	v_sub_u32_e32 v8, v8, v10
	v_mul_lo_u32 v10, v8, s24
	v_sub_u32_e32 v7, v4, v7
	v_sub_u32_e32 v8, v4, v8
	v_mul_lo_u32 v7, v7, v7
	v_mul_lo_u32 v8, v8, v8
	v_sub_u32_e32 v9, v9, v6
	v_add_u32_e32 v9, v9, v3
	v_sub_u32_e32 v11, v10, v2
	v_mad_u64_u32 v[9:10], s[2:3], v9, v9, v[7:8]
	v_add_u32_e32 v7, v11, v3
	v_mad_u64_u32 v[7:8], s[2:3], v7, v7, v[8:9]
	v_cmp_lt_u32_e64 s[2:3], v9, v7
	v_cndmask_b32_e64 v2, v2, v6, s[2:3]
.LBB0_62:
	s_or_b64 exec, exec, s[10:11]
.LBB0_63:
	s_or_b64 exec, exec, s[8:9]
	s_or_b64 exec, exec, s[4:5]
	s_and_saveexec_b64 s[2:3], s[0:1]
	s_cbranch_execz .LBB0_52
.LBB0_64:
	v_mov_b32_e32 v7, s17
	v_add_co_u32_e64 v6, s[0:1], s16, v0
	v_addc_co_u32_e64 v7, s[0:1], v7, v1, s[0:1]
	global_load_dword v6, v[6:7], off
	s_waitcnt vmcnt(0)
	v_cmp_ne_u32_e64 s[0:1], s31, v6
	s_and_saveexec_b64 s[4:5], s[0:1]
	s_cbranch_execz .LBB0_66
; %bb.65:
	v_sub_u32_e32 v7, 0, v6
	v_max_i32_e32 v7, v6, v7
	v_mul_hi_u32 v8, v7, v5
	v_ashrrev_i32_e32 v10, 31, v6
	v_xor_b32_e32 v10, s27, v10
	v_mul_lo_u32 v9, v8, s30
	v_add_u32_e32 v11, 1, v8
	v_sub_u32_e32 v7, v7, v9
	v_cmp_le_u32_e64 s[0:1], s30, v7
	v_cndmask_b32_e64 v8, v8, v11, s[0:1]
	v_sub_u32_e32 v11, 0, v2
	v_max_i32_e32 v11, v2, v11
	v_mul_hi_u32 v12, v11, v5
	v_subrev_u32_e32 v9, s30, v7
	v_cndmask_b32_e64 v7, v7, v9, s[0:1]
	v_add_u32_e32 v9, 1, v8
	v_cmp_le_u32_e64 s[0:1], s30, v7
	v_cndmask_b32_e64 v7, v8, v9, s[0:1]
	v_mul_lo_u32 v8, v12, s30
	v_xor_b32_e32 v7, v7, v10
	v_sub_u32_e32 v7, v7, v10
	v_ashrrev_i32_e32 v10, 31, v2
	v_sub_u32_e32 v8, v11, v8
	v_add_u32_e32 v11, 1, v12
	v_cmp_le_u32_e64 s[0:1], s30, v8
	v_cndmask_b32_e64 v11, v12, v11, s[0:1]
	v_subrev_u32_e32 v12, s30, v8
	v_cndmask_b32_e64 v8, v8, v12, s[0:1]
	v_add_u32_e32 v12, 1, v11
	v_cmp_le_u32_e64 s[0:1], s30, v8
	v_xor_b32_e32 v10, s27, v10
	v_cndmask_b32_e64 v8, v11, v12, s[0:1]
	v_xor_b32_e32 v8, v8, v10
	v_mul_lo_u32 v9, v7, s24
	v_sub_u32_e32 v8, v8, v10
	v_mul_lo_u32 v10, v8, s24
	v_sub_u32_e32 v7, v4, v7
	v_sub_u32_e32 v8, v4, v8
	v_mul_lo_u32 v7, v7, v7
	v_mul_lo_u32 v8, v8, v8
	v_sub_u32_e32 v9, v9, v6
	v_add_u32_e32 v9, v9, v3
	v_sub_u32_e32 v11, v10, v2
	v_mad_u64_u32 v[9:10], s[0:1], v9, v9, v[7:8]
	v_add_u32_e32 v7, v11, v3
	v_mad_u64_u32 v[7:8], s[0:1], v7, v7, v[8:9]
	v_cmp_lt_u32_e64 s[0:1], v9, v7
	v_cndmask_b32_e64 v2, v2, v6, s[0:1]
.LBB0_66:
	s_or_b64 exec, exec, s[4:5]
	s_or_b64 exec, exec, s[2:3]
	s_and_saveexec_b64 s[0:1], vcc
	s_cbranch_execz .LBB0_70
.LBB0_67:
	v_mov_b32_e32 v7, s13
	v_add_co_u32_e32 v6, vcc, s12, v0
	v_addc_co_u32_e32 v7, vcc, v7, v1, vcc
	global_load_dword v6, v[6:7], off
	s_waitcnt vmcnt(0)
	v_cmp_ne_u32_e32 vcc, s31, v6
	s_and_saveexec_b64 s[2:3], vcc
	s_cbranch_execz .LBB0_69
; %bb.68:
	v_sub_u32_e32 v7, 0, v6
	v_max_i32_e32 v7, v6, v7
	v_mul_hi_u32 v8, v7, v5
	v_ashrrev_i32_e32 v10, 31, v6
	v_xor_b32_e32 v10, s27, v10
	v_mul_lo_u32 v9, v8, s30
	v_add_u32_e32 v11, 1, v8
	v_sub_u32_e32 v7, v7, v9
	v_cmp_le_u32_e32 vcc, s30, v7
	v_cndmask_b32_e32 v8, v8, v11, vcc
	v_sub_u32_e32 v11, 0, v2
	v_max_i32_e32 v11, v2, v11
	v_mul_hi_u32 v5, v11, v5
	v_subrev_u32_e32 v9, s30, v7
	v_cndmask_b32_e32 v7, v7, v9, vcc
	v_add_u32_e32 v9, 1, v8
	v_cmp_le_u32_e32 vcc, s30, v7
	v_cndmask_b32_e32 v7, v8, v9, vcc
	v_mul_lo_u32 v8, v5, s30
	v_xor_b32_e32 v7, v7, v10
	v_sub_u32_e32 v7, v7, v10
	v_ashrrev_i32_e32 v10, 31, v2
	v_sub_u32_e32 v8, v11, v8
	v_add_u32_e32 v11, 1, v5
	v_cmp_le_u32_e32 vcc, s30, v8
	v_cndmask_b32_e32 v5, v5, v11, vcc
	v_subrev_u32_e32 v11, s30, v8
	v_cndmask_b32_e32 v8, v8, v11, vcc
	v_add_u32_e32 v11, 1, v5
	v_cmp_le_u32_e32 vcc, s30, v8
	v_xor_b32_e32 v10, s27, v10
	v_cndmask_b32_e32 v5, v5, v11, vcc
	v_xor_b32_e32 v5, v5, v10
	v_sub_u32_e32 v8, v5, v10
	v_mul_lo_u32 v5, v8, s24
	v_mul_lo_u32 v9, v7, s24
	v_sub_u32_e32 v10, v5, v2
	v_sub_u32_e32 v5, v4, v7
	;; [unrolled: 1-line block ×3, first 2 shown]
	v_mul_lo_u32 v5, v5, v5
	v_mul_lo_u32 v4, v4, v4
	v_sub_u32_e32 v9, v9, v6
	v_add_u32_e32 v9, v9, v3
	v_add_u32_e32 v3, v10, v3
	v_mad_u64_u32 v[7:8], s[4:5], v9, v9, v[5:6]
	v_mad_u64_u32 v[3:4], s[4:5], v3, v3, v[4:5]
	v_cmp_lt_u32_e32 vcc, v7, v3
	v_cndmask_b32_e32 v2, v2, v6, vcc
.LBB0_69:
	s_or_b64 exec, exec, s[2:3]
.LBB0_70:
	s_or_b64 exec, exec, s[0:1]
	v_mov_b32_e32 v3, s7
	v_add_co_u32_e32 v0, vcc, s6, v0
	v_addc_co_u32_e32 v1, vcc, v3, v1, vcc
	s_waitcnt vmcnt(0)
	flat_store_dword v[0:1], v2
	s_endpgm
	.section	.rodata,"a",@progbits
	.p2align	6, 0x0
	.amdhsa_kernel _ZN6thrust23THRUST_200600_302600_NS11hip_rocprim14__parallel_for6kernelILj256ENS1_11__transform17unary_transform_fINS0_12zip_iteratorINS0_5tupleINS0_6detail15normal_iteratorINS0_10device_ptrIiEEEESC_SC_SC_SC_SC_SC_SC_SC_NS0_17counting_iteratorIiNS0_11use_defaultESE_SE_EEEEEESC_NS4_14no_stencil_tagE10minFunctorNS4_21always_true_predicateEEElLj1EEEvT0_T1_SN_
		.amdhsa_group_segment_fixed_size 0
		.amdhsa_private_segment_fixed_size 0
		.amdhsa_kernarg_size 120
		.amdhsa_user_sgpr_count 6
		.amdhsa_user_sgpr_private_segment_buffer 1
		.amdhsa_user_sgpr_dispatch_ptr 0
		.amdhsa_user_sgpr_queue_ptr 0
		.amdhsa_user_sgpr_kernarg_segment_ptr 1
		.amdhsa_user_sgpr_dispatch_id 0
		.amdhsa_user_sgpr_flat_scratch_init 0
		.amdhsa_user_sgpr_private_segment_size 0
		.amdhsa_uses_dynamic_stack 0
		.amdhsa_system_sgpr_private_segment_wavefront_offset 0
		.amdhsa_system_sgpr_workgroup_id_x 1
		.amdhsa_system_sgpr_workgroup_id_y 0
		.amdhsa_system_sgpr_workgroup_id_z 0
		.amdhsa_system_sgpr_workgroup_info 0
		.amdhsa_system_vgpr_workitem_id 0
		.amdhsa_next_free_vgpr 14
		.amdhsa_next_free_sgpr 40
		.amdhsa_reserve_vcc 1
		.amdhsa_reserve_flat_scratch 0
		.amdhsa_float_round_mode_32 0
		.amdhsa_float_round_mode_16_64 0
		.amdhsa_float_denorm_mode_32 3
		.amdhsa_float_denorm_mode_16_64 3
		.amdhsa_dx10_clamp 1
		.amdhsa_ieee_mode 1
		.amdhsa_fp16_overflow 0
		.amdhsa_exception_fp_ieee_invalid_op 0
		.amdhsa_exception_fp_denorm_src 0
		.amdhsa_exception_fp_ieee_div_zero 0
		.amdhsa_exception_fp_ieee_overflow 0
		.amdhsa_exception_fp_ieee_underflow 0
		.amdhsa_exception_fp_ieee_inexact 0
		.amdhsa_exception_int_div_zero 0
	.end_amdhsa_kernel
	.section	.text._ZN6thrust23THRUST_200600_302600_NS11hip_rocprim14__parallel_for6kernelILj256ENS1_11__transform17unary_transform_fINS0_12zip_iteratorINS0_5tupleINS0_6detail15normal_iteratorINS0_10device_ptrIiEEEESC_SC_SC_SC_SC_SC_SC_SC_NS0_17counting_iteratorIiNS0_11use_defaultESE_SE_EEEEEESC_NS4_14no_stencil_tagE10minFunctorNS4_21always_true_predicateEEElLj1EEEvT0_T1_SN_,"axG",@progbits,_ZN6thrust23THRUST_200600_302600_NS11hip_rocprim14__parallel_for6kernelILj256ENS1_11__transform17unary_transform_fINS0_12zip_iteratorINS0_5tupleINS0_6detail15normal_iteratorINS0_10device_ptrIiEEEESC_SC_SC_SC_SC_SC_SC_SC_NS0_17counting_iteratorIiNS0_11use_defaultESE_SE_EEEEEESC_NS4_14no_stencil_tagE10minFunctorNS4_21always_true_predicateEEElLj1EEEvT0_T1_SN_,comdat
.Lfunc_end0:
	.size	_ZN6thrust23THRUST_200600_302600_NS11hip_rocprim14__parallel_for6kernelILj256ENS1_11__transform17unary_transform_fINS0_12zip_iteratorINS0_5tupleINS0_6detail15normal_iteratorINS0_10device_ptrIiEEEESC_SC_SC_SC_SC_SC_SC_SC_NS0_17counting_iteratorIiNS0_11use_defaultESE_SE_EEEEEESC_NS4_14no_stencil_tagE10minFunctorNS4_21always_true_predicateEEElLj1EEEvT0_T1_SN_, .Lfunc_end0-_ZN6thrust23THRUST_200600_302600_NS11hip_rocprim14__parallel_for6kernelILj256ENS1_11__transform17unary_transform_fINS0_12zip_iteratorINS0_5tupleINS0_6detail15normal_iteratorINS0_10device_ptrIiEEEESC_SC_SC_SC_SC_SC_SC_SC_NS0_17counting_iteratorIiNS0_11use_defaultESE_SE_EEEEEESC_NS4_14no_stencil_tagE10minFunctorNS4_21always_true_predicateEEElLj1EEEvT0_T1_SN_
                                        ; -- End function
	.set _ZN6thrust23THRUST_200600_302600_NS11hip_rocprim14__parallel_for6kernelILj256ENS1_11__transform17unary_transform_fINS0_12zip_iteratorINS0_5tupleINS0_6detail15normal_iteratorINS0_10device_ptrIiEEEESC_SC_SC_SC_SC_SC_SC_SC_NS0_17counting_iteratorIiNS0_11use_defaultESE_SE_EEEEEESC_NS4_14no_stencil_tagE10minFunctorNS4_21always_true_predicateEEElLj1EEEvT0_T1_SN_.num_vgpr, 14
	.set _ZN6thrust23THRUST_200600_302600_NS11hip_rocprim14__parallel_for6kernelILj256ENS1_11__transform17unary_transform_fINS0_12zip_iteratorINS0_5tupleINS0_6detail15normal_iteratorINS0_10device_ptrIiEEEESC_SC_SC_SC_SC_SC_SC_SC_NS0_17counting_iteratorIiNS0_11use_defaultESE_SE_EEEEEESC_NS4_14no_stencil_tagE10minFunctorNS4_21always_true_predicateEEElLj1EEEvT0_T1_SN_.num_agpr, 0
	.set _ZN6thrust23THRUST_200600_302600_NS11hip_rocprim14__parallel_for6kernelILj256ENS1_11__transform17unary_transform_fINS0_12zip_iteratorINS0_5tupleINS0_6detail15normal_iteratorINS0_10device_ptrIiEEEESC_SC_SC_SC_SC_SC_SC_SC_NS0_17counting_iteratorIiNS0_11use_defaultESE_SE_EEEEEESC_NS4_14no_stencil_tagE10minFunctorNS4_21always_true_predicateEEElLj1EEEvT0_T1_SN_.numbered_sgpr, 40
	.set _ZN6thrust23THRUST_200600_302600_NS11hip_rocprim14__parallel_for6kernelILj256ENS1_11__transform17unary_transform_fINS0_12zip_iteratorINS0_5tupleINS0_6detail15normal_iteratorINS0_10device_ptrIiEEEESC_SC_SC_SC_SC_SC_SC_SC_NS0_17counting_iteratorIiNS0_11use_defaultESE_SE_EEEEEESC_NS4_14no_stencil_tagE10minFunctorNS4_21always_true_predicateEEElLj1EEEvT0_T1_SN_.num_named_barrier, 0
	.set _ZN6thrust23THRUST_200600_302600_NS11hip_rocprim14__parallel_for6kernelILj256ENS1_11__transform17unary_transform_fINS0_12zip_iteratorINS0_5tupleINS0_6detail15normal_iteratorINS0_10device_ptrIiEEEESC_SC_SC_SC_SC_SC_SC_SC_NS0_17counting_iteratorIiNS0_11use_defaultESE_SE_EEEEEESC_NS4_14no_stencil_tagE10minFunctorNS4_21always_true_predicateEEElLj1EEEvT0_T1_SN_.private_seg_size, 0
	.set _ZN6thrust23THRUST_200600_302600_NS11hip_rocprim14__parallel_for6kernelILj256ENS1_11__transform17unary_transform_fINS0_12zip_iteratorINS0_5tupleINS0_6detail15normal_iteratorINS0_10device_ptrIiEEEESC_SC_SC_SC_SC_SC_SC_SC_NS0_17counting_iteratorIiNS0_11use_defaultESE_SE_EEEEEESC_NS4_14no_stencil_tagE10minFunctorNS4_21always_true_predicateEEElLj1EEEvT0_T1_SN_.uses_vcc, 1
	.set _ZN6thrust23THRUST_200600_302600_NS11hip_rocprim14__parallel_for6kernelILj256ENS1_11__transform17unary_transform_fINS0_12zip_iteratorINS0_5tupleINS0_6detail15normal_iteratorINS0_10device_ptrIiEEEESC_SC_SC_SC_SC_SC_SC_SC_NS0_17counting_iteratorIiNS0_11use_defaultESE_SE_EEEEEESC_NS4_14no_stencil_tagE10minFunctorNS4_21always_true_predicateEEElLj1EEEvT0_T1_SN_.uses_flat_scratch, 0
	.set _ZN6thrust23THRUST_200600_302600_NS11hip_rocprim14__parallel_for6kernelILj256ENS1_11__transform17unary_transform_fINS0_12zip_iteratorINS0_5tupleINS0_6detail15normal_iteratorINS0_10device_ptrIiEEEESC_SC_SC_SC_SC_SC_SC_SC_NS0_17counting_iteratorIiNS0_11use_defaultESE_SE_EEEEEESC_NS4_14no_stencil_tagE10minFunctorNS4_21always_true_predicateEEElLj1EEEvT0_T1_SN_.has_dyn_sized_stack, 0
	.set _ZN6thrust23THRUST_200600_302600_NS11hip_rocprim14__parallel_for6kernelILj256ENS1_11__transform17unary_transform_fINS0_12zip_iteratorINS0_5tupleINS0_6detail15normal_iteratorINS0_10device_ptrIiEEEESC_SC_SC_SC_SC_SC_SC_SC_NS0_17counting_iteratorIiNS0_11use_defaultESE_SE_EEEEEESC_NS4_14no_stencil_tagE10minFunctorNS4_21always_true_predicateEEElLj1EEEvT0_T1_SN_.has_recursion, 0
	.set _ZN6thrust23THRUST_200600_302600_NS11hip_rocprim14__parallel_for6kernelILj256ENS1_11__transform17unary_transform_fINS0_12zip_iteratorINS0_5tupleINS0_6detail15normal_iteratorINS0_10device_ptrIiEEEESC_SC_SC_SC_SC_SC_SC_SC_NS0_17counting_iteratorIiNS0_11use_defaultESE_SE_EEEEEESC_NS4_14no_stencil_tagE10minFunctorNS4_21always_true_predicateEEElLj1EEEvT0_T1_SN_.has_indirect_call, 0
	.section	.AMDGPU.csdata,"",@progbits
; Kernel info:
; codeLenInByte = 5704
; TotalNumSgprs: 44
; NumVgprs: 14
; ScratchSize: 0
; MemoryBound: 0
; FloatMode: 240
; IeeeMode: 1
; LDSByteSize: 0 bytes/workgroup (compile time only)
; SGPRBlocks: 5
; VGPRBlocks: 3
; NumSGPRsForWavesPerEU: 44
; NumVGPRsForWavesPerEU: 14
; Occupancy: 10
; WaveLimiterHint : 1
; COMPUTE_PGM_RSRC2:SCRATCH_EN: 0
; COMPUTE_PGM_RSRC2:USER_SGPR: 6
; COMPUTE_PGM_RSRC2:TRAP_HANDLER: 0
; COMPUTE_PGM_RSRC2:TGID_X_EN: 1
; COMPUTE_PGM_RSRC2:TGID_Y_EN: 0
; COMPUTE_PGM_RSRC2:TGID_Z_EN: 0
; COMPUTE_PGM_RSRC2:TIDIG_COMP_CNT: 0
	.section	.AMDGPU.gpr_maximums,"",@progbits
	.set amdgpu.max_num_vgpr, 0
	.set amdgpu.max_num_agpr, 0
	.set amdgpu.max_num_sgpr, 0
	.section	.AMDGPU.csdata,"",@progbits
	.type	__hip_cuid_d31fbff33e1bbaa2,@object ; @__hip_cuid_d31fbff33e1bbaa2
	.section	.bss,"aw",@nobits
	.globl	__hip_cuid_d31fbff33e1bbaa2
__hip_cuid_d31fbff33e1bbaa2:
	.byte	0                               ; 0x0
	.size	__hip_cuid_d31fbff33e1bbaa2, 1

	.ident	"AMD clang version 22.0.0git (https://github.com/RadeonOpenCompute/llvm-project roc-7.2.4 26084 f58b06dce1f9c15707c5f808fd002e18c2accf7e)"
	.section	".note.GNU-stack","",@progbits
	.addrsig
	.addrsig_sym __hip_cuid_d31fbff33e1bbaa2
	.amdgpu_metadata
---
amdhsa.kernels:
  - .args:
      - .offset:         0
        .size:           104
        .value_kind:     by_value
      - .offset:         104
        .size:           8
        .value_kind:     by_value
      - .offset:         112
        .size:           8
        .value_kind:     by_value
    .group_segment_fixed_size: 0
    .kernarg_segment_align: 8
    .kernarg_segment_size: 120
    .language:       OpenCL C
    .language_version:
      - 2
      - 0
    .max_flat_workgroup_size: 256
    .name:           _ZN6thrust23THRUST_200600_302600_NS11hip_rocprim14__parallel_for6kernelILj256ENS1_11__transform17unary_transform_fINS0_12zip_iteratorINS0_5tupleINS0_6detail15normal_iteratorINS0_10device_ptrIiEEEESC_SC_SC_SC_SC_SC_SC_SC_NS0_17counting_iteratorIiNS0_11use_defaultESE_SE_EEEEEESC_NS4_14no_stencil_tagE10minFunctorNS4_21always_true_predicateEEElLj1EEEvT0_T1_SN_
    .private_segment_fixed_size: 0
    .sgpr_count:     44
    .sgpr_spill_count: 0
    .symbol:         _ZN6thrust23THRUST_200600_302600_NS11hip_rocprim14__parallel_for6kernelILj256ENS1_11__transform17unary_transform_fINS0_12zip_iteratorINS0_5tupleINS0_6detail15normal_iteratorINS0_10device_ptrIiEEEESC_SC_SC_SC_SC_SC_SC_SC_NS0_17counting_iteratorIiNS0_11use_defaultESE_SE_EEEEEESC_NS4_14no_stencil_tagE10minFunctorNS4_21always_true_predicateEEElLj1EEEvT0_T1_SN_.kd
    .uniform_work_group_size: 1
    .uses_dynamic_stack: false
    .vgpr_count:     14
    .vgpr_spill_count: 0
    .wavefront_size: 64
amdhsa.target:   amdgcn-amd-amdhsa--gfx906
amdhsa.version:
  - 1
  - 2
...

	.end_amdgpu_metadata
